;; amdgpu-corpus repo=zjin-lcf/HeCBench kind=compiled arch=gfx906 opt=O3
	.amdgcn_target "amdgcn-amd-amdhsa--gfx906"
	.amdhsa_code_object_version 6
	.text
	.protected	_Z13cuThomasBatchPKdS0_PdS1_ii ; -- Begin function _Z13cuThomasBatchPKdS0_PdS1_ii
	.globl	_Z13cuThomasBatchPKdS0_PdS1_ii
	.p2align	8
	.type	_Z13cuThomasBatchPKdS0_PdS1_ii,@function
_Z13cuThomasBatchPKdS0_PdS1_ii:         ; @_Z13cuThomasBatchPKdS0_PdS1_ii
; %bb.0:
	s_load_dword s0, s[4:5], 0x34
	s_load_dwordx2 s[2:3], s[4:5], 0x20
	s_waitcnt lgkmcnt(0)
	s_and_b32 s0, s0, 0xffff
	s_mul_i32 s6, s6, s0
	v_add_u32_e32 v0, s6, v0
	v_cmp_gt_i32_e32 vcc, s3, v0
	s_and_saveexec_b64 s[0:1], vcc
	s_cbranch_execz .LBB0_8
; %bb.1:
	s_load_dwordx8 s[8:15], s[4:5], 0x0
	v_ashrrev_i32_e32 v1, 31, v0
	v_lshlrev_b64 v[3:4], 3, v[0:1]
	s_waitcnt lgkmcnt(0)
	v_mov_b32_e32 v2, s11
	v_add_co_u32_e32 v1, vcc, s10, v3
	v_addc_co_u32_e32 v2, vcc, v2, v4, vcc
	v_mov_b32_e32 v7, s13
	v_add_co_u32_e32 v12, vcc, s12, v3
	v_addc_co_u32_e32 v13, vcc, v7, v4, vcc
	global_load_dwordx2 v[5:6], v[1:2], off
	global_load_dwordx2 v[7:8], v[12:13], off
	v_mov_b32_e32 v9, s15
	v_add_co_u32_e32 v3, vcc, s14, v3
	v_addc_co_u32_e32 v4, vcc, v9, v4, vcc
	global_load_dwordx2 v[14:15], v[3:4], off
	s_waitcnt vmcnt(1)
	v_div_scale_f64 v[9:10], s[0:1], v[5:6], v[5:6], v[7:8]
	s_waitcnt vmcnt(0)
	v_div_scale_f64 v[16:17], s[0:1], v[5:6], v[5:6], v[14:15]
	v_rcp_f64_e32 v[18:19], v[9:10]
	v_rcp_f64_e32 v[20:21], v[16:17]
	v_fma_f64 v[22:23], -v[9:10], v[18:19], 1.0
	v_fma_f64 v[24:25], -v[16:17], v[20:21], 1.0
	v_fma_f64 v[18:19], v[18:19], v[22:23], v[18:19]
	v_fma_f64 v[20:21], v[20:21], v[24:25], v[20:21]
	v_div_scale_f64 v[24:25], vcc, v[7:8], v[5:6], v[7:8]
	v_fma_f64 v[22:23], -v[9:10], v[18:19], 1.0
	v_fma_f64 v[26:27], -v[16:17], v[20:21], 1.0
	v_fma_f64 v[18:19], v[18:19], v[22:23], v[18:19]
	v_div_scale_f64 v[22:23], s[0:1], v[14:15], v[5:6], v[14:15]
	v_fma_f64 v[20:21], v[20:21], v[26:27], v[20:21]
	v_mul_f64 v[26:27], v[24:25], v[18:19]
	v_fma_f64 v[9:10], -v[9:10], v[26:27], v[24:25]
	v_mul_f64 v[24:25], v[22:23], v[20:21]
	v_div_fmas_f64 v[9:10], v[9:10], v[18:19], v[26:27]
	v_fma_f64 v[16:17], -v[16:17], v[24:25], v[22:23]
	s_mov_b64 vcc, s[0:1]
	s_add_i32 s0, s2, -1
	s_mul_i32 s4, s3, s0
	s_cmp_ge_i32 s3, s4
	v_div_fmas_f64 v[16:17], v[16:17], v[20:21], v[24:25]
	v_div_fixup_f64 v[10:11], v[9:10], v[5:6], v[7:8]
	global_store_dwordx2 v[12:13], v[10:11], off
	v_div_fixup_f64 v[8:9], v[16:17], v[5:6], v[14:15]
	v_add_u32_e32 v5, s4, v0
	global_store_dwordx2 v[3:4], v[8:9], off
	s_cbranch_scc1 .LBB0_5
; %bb.2:
	v_add_u32_e32 v6, s3, v0
	v_ashrrev_i32_e32 v7, 31, v6
	v_lshlrev_b64 v[6:7], 3, v[6:7]
	s_ashr_i32 s1, s3, 31
	s_mov_b32 s0, s3
	s_lshl_b64 s[16:17], s[0:1], 3
	s_mov_b64 s[6:7], 0
	v_mov_b32_e32 v12, v0
.LBB0_3:                                ; =>This Inner Loop Header: Depth=1
	v_mov_b32_e32 v14, s11
	v_add_co_u32_e64 v15, s[0:1], s10, v6
	v_mov_b32_e32 v17, s9
	v_add_co_u32_e32 v13, vcc, s8, v6
	v_addc_co_u32_e64 v16, s[0:1], v14, v7, s[0:1]
	v_addc_co_u32_e32 v14, vcc, v17, v7, vcc
	global_load_dwordx2 v[17:18], v[15:16], off
	global_load_dwordx2 v[19:20], v[13:14], off
	v_mov_b32_e32 v16, s13
	v_add_co_u32_e32 v14, vcc, s12, v6
	v_addc_co_u32_e32 v15, vcc, v16, v7, vcc
	global_load_dwordx2 v[21:22], v[14:15], off
	v_ashrrev_i32_e32 v13, 31, v12
	s_waitcnt vmcnt(1)
	v_fma_f64 v[10:11], -v[19:20], v[10:11], v[17:18]
	s_waitcnt vmcnt(0)
	v_div_scale_f64 v[23:24], s[0:1], v[10:11], v[10:11], v[21:22]
	v_rcp_f64_e32 v[25:26], v[23:24]
	v_fma_f64 v[27:28], -v[23:24], v[25:26], 1.0
	v_fma_f64 v[25:26], v[25:26], v[27:28], v[25:26]
	v_div_scale_f64 v[27:28], vcc, v[21:22], v[10:11], v[21:22]
	v_fma_f64 v[29:30], -v[23:24], v[25:26], 1.0
	v_fma_f64 v[25:26], v[25:26], v[29:30], v[25:26]
	v_mul_f64 v[29:30], v[27:28], v[25:26]
	v_fma_f64 v[23:24], -v[23:24], v[29:30], v[27:28]
	v_lshlrev_b64 v[27:28], 3, v[12:13]
	v_add_u32_e32 v12, s3, v12
	v_div_fmas_f64 v[23:24], v[23:24], v[25:26], v[29:30]
	v_mov_b32_e32 v26, s15
	v_add_co_u32_e32 v25, vcc, s14, v6
	v_addc_co_u32_e32 v26, vcc, v26, v7, vcc
	v_div_fixup_f64 v[10:11], v[23:24], v[10:11], v[21:22]
	v_add_co_u32_e32 v23, vcc, s12, v27
	v_addc_co_u32_e32 v24, vcc, v16, v28, vcc
	global_load_dwordx2 v[21:22], v[25:26], off
	s_waitcnt vmcnt(0)
	v_fma_f64 v[8:9], -v[19:20], v[8:9], v[21:22]
	global_store_dwordx2 v[14:15], v[10:11], off
	global_load_dwordx2 v[13:14], v[23:24], off
	s_waitcnt vmcnt(0)
	v_fma_f64 v[13:14], -v[19:20], v[13:14], v[17:18]
	v_div_scale_f64 v[15:16], s[0:1], v[13:14], v[13:14], v[8:9]
	v_rcp_f64_e32 v[17:18], v[15:16]
	v_fma_f64 v[19:20], -v[15:16], v[17:18], 1.0
	v_fma_f64 v[17:18], v[17:18], v[19:20], v[17:18]
	v_div_scale_f64 v[19:20], vcc, v[8:9], v[13:14], v[8:9]
	v_fma_f64 v[21:22], -v[15:16], v[17:18], 1.0
	v_fma_f64 v[17:18], v[17:18], v[21:22], v[17:18]
	v_mul_f64 v[21:22], v[19:20], v[17:18]
	v_fma_f64 v[15:16], -v[15:16], v[21:22], v[19:20]
	v_div_fmas_f64 v[15:16], v[15:16], v[17:18], v[21:22]
	v_mov_b32_e32 v17, s17
	v_add_co_u32_e32 v6, vcc, s16, v6
	v_addc_co_u32_e32 v7, vcc, v7, v17, vcc
	v_div_fixup_f64 v[8:9], v[15:16], v[13:14], v[8:9]
	v_add_u32_e32 v13, s3, v12
	v_cmp_ge_i32_e32 vcc, v13, v5
	s_or_b64 s[6:7], vcc, s[6:7]
	global_store_dwordx2 v[25:26], v[8:9], off
	s_andn2_b64 exec, exec, s[6:7]
	s_cbranch_execnz .LBB0_3
; %bb.4:
	s_or_b64 exec, exec, s[6:7]
.LBB0_5:
	s_ashr_i32 s5, s4, 31
	v_ashrrev_i32_e32 v6, 31, v5
	s_lshl_b64 s[0:1], s[4:5], 3
	v_mov_b32_e32 v15, s1
	v_add_co_u32_e32 v3, vcc, s0, v3
	v_lshlrev_b64 v[9:10], 3, v[5:6]
	v_addc_co_u32_e32 v4, vcc, v4, v15, vcc
	v_mov_b32_e32 v6, s9
	v_add_co_u32_e32 v9, vcc, s8, v9
	v_subrev_u32_e32 v5, s3, v5
	v_addc_co_u32_e32 v10, vcc, v6, v10, vcc
	v_ashrrev_i32_e32 v6, 31, v5
	v_lshlrev_b64 v[11:12], 3, v[5:6]
	v_mov_b32_e32 v6, s15
	v_add_co_u32_e32 v13, vcc, s14, v11
	v_addc_co_u32_e32 v14, vcc, v6, v12, vcc
	v_add_co_u32_e32 v1, vcc, s0, v1
	v_addc_co_u32_e32 v2, vcc, v2, v15, vcc
	v_mov_b32_e32 v6, s13
	v_add_co_u32_e32 v11, vcc, s12, v11
	v_addc_co_u32_e32 v12, vcc, v6, v12, vcc
	global_load_dwordx2 v[7:8], v[3:4], off
	s_nop 0
	global_load_dwordx2 v[9:10], v[9:10], off
	s_nop 0
	global_load_dwordx2 v[13:14], v[13:14], off
	s_waitcnt vmcnt(0)
	v_fma_f64 v[6:7], -v[9:10], v[13:14], v[7:8]
	global_load_dwordx2 v[1:2], v[1:2], off
	s_nop 0
	global_load_dwordx2 v[11:12], v[11:12], off
	s_waitcnt vmcnt(0)
	v_fma_f64 v[1:2], -v[9:10], v[11:12], v[1:2]
	v_div_scale_f64 v[8:9], s[0:1], v[1:2], v[1:2], v[6:7]
	v_rcp_f64_e32 v[10:11], v[8:9]
	v_fma_f64 v[12:13], -v[8:9], v[10:11], 1.0
	v_fma_f64 v[10:11], v[10:11], v[12:13], v[10:11]
	v_div_scale_f64 v[12:13], vcc, v[6:7], v[1:2], v[6:7]
	v_fma_f64 v[14:15], -v[8:9], v[10:11], 1.0
	v_fma_f64 v[10:11], v[10:11], v[14:15], v[10:11]
	v_mul_f64 v[14:15], v[12:13], v[10:11]
	v_fma_f64 v[8:9], -v[8:9], v[14:15], v[12:13]
	v_div_fmas_f64 v[8:9], v[8:9], v[10:11], v[14:15]
	v_cmp_ge_i32_e32 vcc, v5, v0
	v_div_fixup_f64 v[1:2], v[8:9], v[1:2], v[6:7]
	global_store_dwordx2 v[3:4], v[1:2], off
	s_and_b64 exec, exec, vcc
	s_cbranch_execz .LBB0_8
; %bb.6:
	s_add_i32 s0, s2, -2
	s_mul_i32 s2, s3, s0
	s_mov_b64 s[0:1], 0
	v_mov_b32_e32 v1, v0
.LBB0_7:                                ; =>This Inner Loop Header: Depth=1
	v_add_u32_e32 v2, s2, v1
	v_ashrrev_i32_e32 v3, 31, v2
	v_add_u32_e32 v4, s4, v1
	v_lshlrev_b64 v[2:3], 3, v[2:3]
	v_ashrrev_i32_e32 v5, 31, v4
	v_mov_b32_e32 v7, s13
	v_lshlrev_b64 v[4:5], 3, v[4:5]
	v_add_co_u32_e32 v6, vcc, s12, v2
	v_addc_co_u32_e32 v7, vcc, v7, v3, vcc
	v_mov_b32_e32 v8, s15
	v_add_co_u32_e32 v4, vcc, s14, v4
	v_addc_co_u32_e32 v5, vcc, v8, v5, vcc
	v_add_co_u32_e32 v2, vcc, s14, v2
	v_addc_co_u32_e32 v3, vcc, v8, v3, vcc
	global_load_dwordx2 v[8:9], v[6:7], off
	global_load_dwordx2 v[10:11], v[4:5], off
	;; [unrolled: 1-line block ×3, first 2 shown]
	v_subrev_u32_e32 v1, s3, v1
	v_add_u32_e32 v6, s2, v1
	v_cmp_lt_i32_e32 vcc, v6, v0
	s_or_b64 s[0:1], vcc, s[0:1]
	s_waitcnt vmcnt(0)
	v_fma_f64 v[4:5], -v[8:9], v[10:11], v[12:13]
	global_store_dwordx2 v[2:3], v[4:5], off
	s_andn2_b64 exec, exec, s[0:1]
	s_cbranch_execnz .LBB0_7
.LBB0_8:
	s_endpgm
	.section	.rodata,"a",@progbits
	.p2align	6, 0x0
	.amdhsa_kernel _Z13cuThomasBatchPKdS0_PdS1_ii
		.amdhsa_group_segment_fixed_size 0
		.amdhsa_private_segment_fixed_size 0
		.amdhsa_kernarg_size 296
		.amdhsa_user_sgpr_count 6
		.amdhsa_user_sgpr_private_segment_buffer 1
		.amdhsa_user_sgpr_dispatch_ptr 0
		.amdhsa_user_sgpr_queue_ptr 0
		.amdhsa_user_sgpr_kernarg_segment_ptr 1
		.amdhsa_user_sgpr_dispatch_id 0
		.amdhsa_user_sgpr_flat_scratch_init 0
		.amdhsa_user_sgpr_private_segment_size 0
		.amdhsa_uses_dynamic_stack 0
		.amdhsa_system_sgpr_private_segment_wavefront_offset 0
		.amdhsa_system_sgpr_workgroup_id_x 1
		.amdhsa_system_sgpr_workgroup_id_y 0
		.amdhsa_system_sgpr_workgroup_id_z 0
		.amdhsa_system_sgpr_workgroup_info 0
		.amdhsa_system_vgpr_workitem_id 0
		.amdhsa_next_free_vgpr 31
		.amdhsa_next_free_sgpr 18
		.amdhsa_reserve_vcc 1
		.amdhsa_reserve_flat_scratch 0
		.amdhsa_float_round_mode_32 0
		.amdhsa_float_round_mode_16_64 0
		.amdhsa_float_denorm_mode_32 3
		.amdhsa_float_denorm_mode_16_64 3
		.amdhsa_dx10_clamp 1
		.amdhsa_ieee_mode 1
		.amdhsa_fp16_overflow 0
		.amdhsa_exception_fp_ieee_invalid_op 0
		.amdhsa_exception_fp_denorm_src 0
		.amdhsa_exception_fp_ieee_div_zero 0
		.amdhsa_exception_fp_ieee_overflow 0
		.amdhsa_exception_fp_ieee_underflow 0
		.amdhsa_exception_fp_ieee_inexact 0
		.amdhsa_exception_int_div_zero 0
	.end_amdhsa_kernel
	.text
.Lfunc_end0:
	.size	_Z13cuThomasBatchPKdS0_PdS1_ii, .Lfunc_end0-_Z13cuThomasBatchPKdS0_PdS1_ii
                                        ; -- End function
	.set _Z13cuThomasBatchPKdS0_PdS1_ii.num_vgpr, 31
	.set _Z13cuThomasBatchPKdS0_PdS1_ii.num_agpr, 0
	.set _Z13cuThomasBatchPKdS0_PdS1_ii.numbered_sgpr, 18
	.set _Z13cuThomasBatchPKdS0_PdS1_ii.num_named_barrier, 0
	.set _Z13cuThomasBatchPKdS0_PdS1_ii.private_seg_size, 0
	.set _Z13cuThomasBatchPKdS0_PdS1_ii.uses_vcc, 1
	.set _Z13cuThomasBatchPKdS0_PdS1_ii.uses_flat_scratch, 0
	.set _Z13cuThomasBatchPKdS0_PdS1_ii.has_dyn_sized_stack, 0
	.set _Z13cuThomasBatchPKdS0_PdS1_ii.has_recursion, 0
	.set _Z13cuThomasBatchPKdS0_PdS1_ii.has_indirect_call, 0
	.section	.AMDGPU.csdata,"",@progbits
; Kernel info:
; codeLenInByte = 1188
; TotalNumSgprs: 22
; NumVgprs: 31
; ScratchSize: 0
; MemoryBound: 0
; FloatMode: 240
; IeeeMode: 1
; LDSByteSize: 0 bytes/workgroup (compile time only)
; SGPRBlocks: 2
; VGPRBlocks: 7
; NumSGPRsForWavesPerEU: 22
; NumVGPRsForWavesPerEU: 31
; Occupancy: 8
; WaveLimiterHint : 0
; COMPUTE_PGM_RSRC2:SCRATCH_EN: 0
; COMPUTE_PGM_RSRC2:USER_SGPR: 6
; COMPUTE_PGM_RSRC2:TRAP_HANDLER: 0
; COMPUTE_PGM_RSRC2:TGID_X_EN: 1
; COMPUTE_PGM_RSRC2:TGID_Y_EN: 0
; COMPUTE_PGM_RSRC2:TGID_Z_EN: 0
; COMPUTE_PGM_RSRC2:TIDIG_COMP_CNT: 0
	.section	.AMDGPU.gpr_maximums,"",@progbits
	.set amdgpu.max_num_vgpr, 0
	.set amdgpu.max_num_agpr, 0
	.set amdgpu.max_num_sgpr, 0
	.section	.AMDGPU.csdata,"",@progbits
	.type	__hip_cuid_438881c8d11c14b4,@object ; @__hip_cuid_438881c8d11c14b4
	.section	.bss,"aw",@nobits
	.globl	__hip_cuid_438881c8d11c14b4
__hip_cuid_438881c8d11c14b4:
	.byte	0                               ; 0x0
	.size	__hip_cuid_438881c8d11c14b4, 1

	.ident	"AMD clang version 22.0.0git (https://github.com/RadeonOpenCompute/llvm-project roc-7.2.4 26084 f58b06dce1f9c15707c5f808fd002e18c2accf7e)"
	.section	".note.GNU-stack","",@progbits
	.addrsig
	.addrsig_sym __hip_cuid_438881c8d11c14b4
	.amdgpu_metadata
---
amdhsa.kernels:
  - .args:
      - .actual_access:  read_only
        .address_space:  global
        .offset:         0
        .size:           8
        .value_kind:     global_buffer
      - .actual_access:  read_only
        .address_space:  global
        .offset:         8
        .size:           8
        .value_kind:     global_buffer
      - .address_space:  global
        .offset:         16
        .size:           8
        .value_kind:     global_buffer
      - .address_space:  global
        .offset:         24
        .size:           8
        .value_kind:     global_buffer
      - .offset:         32
        .size:           4
        .value_kind:     by_value
      - .offset:         36
        .size:           4
        .value_kind:     by_value
      - .offset:         40
        .size:           4
        .value_kind:     hidden_block_count_x
      - .offset:         44
        .size:           4
        .value_kind:     hidden_block_count_y
      - .offset:         48
        .size:           4
        .value_kind:     hidden_block_count_z
      - .offset:         52
        .size:           2
        .value_kind:     hidden_group_size_x
      - .offset:         54
        .size:           2
        .value_kind:     hidden_group_size_y
      - .offset:         56
        .size:           2
        .value_kind:     hidden_group_size_z
      - .offset:         58
        .size:           2
        .value_kind:     hidden_remainder_x
      - .offset:         60
        .size:           2
        .value_kind:     hidden_remainder_y
      - .offset:         62
        .size:           2
        .value_kind:     hidden_remainder_z
      - .offset:         80
        .size:           8
        .value_kind:     hidden_global_offset_x
      - .offset:         88
        .size:           8
        .value_kind:     hidden_global_offset_y
      - .offset:         96
        .size:           8
        .value_kind:     hidden_global_offset_z
      - .offset:         104
        .size:           2
        .value_kind:     hidden_grid_dims
    .group_segment_fixed_size: 0
    .kernarg_segment_align: 8
    .kernarg_segment_size: 296
    .language:       OpenCL C
    .language_version:
      - 2
      - 0
    .max_flat_workgroup_size: 1024
    .name:           _Z13cuThomasBatchPKdS0_PdS1_ii
    .private_segment_fixed_size: 0
    .sgpr_count:     22
    .sgpr_spill_count: 0
    .symbol:         _Z13cuThomasBatchPKdS0_PdS1_ii.kd
    .uniform_work_group_size: 1
    .uses_dynamic_stack: false
    .vgpr_count:     31
    .vgpr_spill_count: 0
    .wavefront_size: 64
amdhsa.target:   amdgcn-amd-amdhsa--gfx906
amdhsa.version:
  - 1
  - 2
...

	.end_amdgpu_metadata
